;; amdgpu-corpus repo=ROCm/rocFFT kind=compiled arch=gfx1030 opt=O3
	.text
	.amdgcn_target "amdgcn-amd-amdhsa--gfx1030"
	.amdhsa_code_object_version 6
	.protected	fft_rtc_fwd_len770_factors_11_10_7_wgs_220_tpt_110_dp_ip_CI_unitstride_sbrr_dirReg ; -- Begin function fft_rtc_fwd_len770_factors_11_10_7_wgs_220_tpt_110_dp_ip_CI_unitstride_sbrr_dirReg
	.globl	fft_rtc_fwd_len770_factors_11_10_7_wgs_220_tpt_110_dp_ip_CI_unitstride_sbrr_dirReg
	.p2align	8
	.type	fft_rtc_fwd_len770_factors_11_10_7_wgs_220_tpt_110_dp_ip_CI_unitstride_sbrr_dirReg,@function
fft_rtc_fwd_len770_factors_11_10_7_wgs_220_tpt_110_dp_ip_CI_unitstride_sbrr_dirReg: ; @fft_rtc_fwd_len770_factors_11_10_7_wgs_220_tpt_110_dp_ip_CI_unitstride_sbrr_dirReg
; %bb.0:
	s_clause 0x2
	s_load_dwordx4 s[8:11], s[4:5], 0x0
	s_load_dwordx2 s[2:3], s[4:5], 0x50
	s_load_dwordx2 s[12:13], s[4:5], 0x18
	v_mul_u32_u24_e32 v1, 0x254, v0
	v_mov_b32_e32 v3, 0
	v_lshrrev_b32_e32 v88, 16, v1
	v_mov_b32_e32 v1, 0
	v_mov_b32_e32 v6, v3
	v_mov_b32_e32 v2, 0
	v_lshl_add_u32 v5, s6, 1, v88
	s_waitcnt lgkmcnt(0)
	v_cmp_lt_u64_e64 s0, s[10:11], 2
	s_and_b32 vcc_lo, exec_lo, s0
	s_cbranch_vccnz .LBB0_8
; %bb.1:
	s_load_dwordx2 s[0:1], s[4:5], 0x10
	v_mov_b32_e32 v1, 0
	s_add_u32 s6, s12, 8
	v_mov_b32_e32 v2, 0
	s_addc_u32 s7, s13, 0
	s_mov_b64 s[16:17], 1
	s_waitcnt lgkmcnt(0)
	s_add_u32 s14, s0, 8
	s_addc_u32 s15, s1, 0
.LBB0_2:                                ; =>This Inner Loop Header: Depth=1
	s_load_dwordx2 s[18:19], s[14:15], 0x0
                                        ; implicit-def: $vgpr7_vgpr8
	s_mov_b32 s0, exec_lo
	s_waitcnt lgkmcnt(0)
	v_or_b32_e32 v4, s19, v6
	v_cmpx_ne_u64_e32 0, v[3:4]
	s_xor_b32 s1, exec_lo, s0
	s_cbranch_execz .LBB0_4
; %bb.3:                                ;   in Loop: Header=BB0_2 Depth=1
	v_cvt_f32_u32_e32 v4, s18
	v_cvt_f32_u32_e32 v7, s19
	s_sub_u32 s0, 0, s18
	s_subb_u32 s20, 0, s19
	v_fmac_f32_e32 v4, 0x4f800000, v7
	v_rcp_f32_e32 v4, v4
	v_mul_f32_e32 v4, 0x5f7ffffc, v4
	v_mul_f32_e32 v7, 0x2f800000, v4
	v_trunc_f32_e32 v7, v7
	v_fmac_f32_e32 v4, 0xcf800000, v7
	v_cvt_u32_f32_e32 v7, v7
	v_cvt_u32_f32_e32 v4, v4
	v_mul_lo_u32 v8, s0, v7
	v_mul_hi_u32 v9, s0, v4
	v_mul_lo_u32 v10, s20, v4
	v_add_nc_u32_e32 v8, v9, v8
	v_mul_lo_u32 v9, s0, v4
	v_add_nc_u32_e32 v8, v8, v10
	v_mul_hi_u32 v10, v4, v9
	v_mul_lo_u32 v11, v4, v8
	v_mul_hi_u32 v12, v4, v8
	v_mul_hi_u32 v13, v7, v9
	v_mul_lo_u32 v9, v7, v9
	v_mul_hi_u32 v14, v7, v8
	v_mul_lo_u32 v8, v7, v8
	v_add_co_u32 v10, vcc_lo, v10, v11
	v_add_co_ci_u32_e32 v11, vcc_lo, 0, v12, vcc_lo
	v_add_co_u32 v9, vcc_lo, v10, v9
	v_add_co_ci_u32_e32 v9, vcc_lo, v11, v13, vcc_lo
	v_add_co_ci_u32_e32 v10, vcc_lo, 0, v14, vcc_lo
	v_add_co_u32 v8, vcc_lo, v9, v8
	v_add_co_ci_u32_e32 v9, vcc_lo, 0, v10, vcc_lo
	v_add_co_u32 v4, vcc_lo, v4, v8
	v_add_co_ci_u32_e32 v7, vcc_lo, v7, v9, vcc_lo
	v_mul_hi_u32 v8, s0, v4
	v_mul_lo_u32 v10, s20, v4
	v_mul_lo_u32 v9, s0, v7
	v_add_nc_u32_e32 v8, v8, v9
	v_mul_lo_u32 v9, s0, v4
	v_add_nc_u32_e32 v8, v8, v10
	v_mul_hi_u32 v10, v4, v9
	v_mul_lo_u32 v11, v4, v8
	v_mul_hi_u32 v12, v4, v8
	v_mul_hi_u32 v13, v7, v9
	v_mul_lo_u32 v9, v7, v9
	v_mul_hi_u32 v14, v7, v8
	v_mul_lo_u32 v8, v7, v8
	v_add_co_u32 v10, vcc_lo, v10, v11
	v_add_co_ci_u32_e32 v11, vcc_lo, 0, v12, vcc_lo
	v_add_co_u32 v9, vcc_lo, v10, v9
	v_add_co_ci_u32_e32 v9, vcc_lo, v11, v13, vcc_lo
	v_add_co_ci_u32_e32 v10, vcc_lo, 0, v14, vcc_lo
	v_add_co_u32 v8, vcc_lo, v9, v8
	v_add_co_ci_u32_e32 v9, vcc_lo, 0, v10, vcc_lo
	v_add_co_u32 v4, vcc_lo, v4, v8
	v_add_co_ci_u32_e32 v11, vcc_lo, v7, v9, vcc_lo
	v_mul_hi_u32 v13, v5, v4
	v_mad_u64_u32 v[9:10], null, v6, v4, 0
	v_mad_u64_u32 v[7:8], null, v5, v11, 0
	;; [unrolled: 1-line block ×3, first 2 shown]
	v_add_co_u32 v4, vcc_lo, v13, v7
	v_add_co_ci_u32_e32 v7, vcc_lo, 0, v8, vcc_lo
	v_add_co_u32 v4, vcc_lo, v4, v9
	v_add_co_ci_u32_e32 v4, vcc_lo, v7, v10, vcc_lo
	v_add_co_ci_u32_e32 v7, vcc_lo, 0, v12, vcc_lo
	v_add_co_u32 v4, vcc_lo, v4, v11
	v_add_co_ci_u32_e32 v9, vcc_lo, 0, v7, vcc_lo
	v_mul_lo_u32 v10, s19, v4
	v_mad_u64_u32 v[7:8], null, s18, v4, 0
	v_mul_lo_u32 v11, s18, v9
	v_sub_co_u32 v7, vcc_lo, v5, v7
	v_add3_u32 v8, v8, v11, v10
	v_sub_nc_u32_e32 v10, v6, v8
	v_subrev_co_ci_u32_e64 v10, s0, s19, v10, vcc_lo
	v_add_co_u32 v11, s0, v4, 2
	v_add_co_ci_u32_e64 v12, s0, 0, v9, s0
	v_sub_co_u32 v13, s0, v7, s18
	v_sub_co_ci_u32_e32 v8, vcc_lo, v6, v8, vcc_lo
	v_subrev_co_ci_u32_e64 v10, s0, 0, v10, s0
	v_cmp_le_u32_e32 vcc_lo, s18, v13
	v_cmp_eq_u32_e64 s0, s19, v8
	v_cndmask_b32_e64 v13, 0, -1, vcc_lo
	v_cmp_le_u32_e32 vcc_lo, s19, v10
	v_cndmask_b32_e64 v14, 0, -1, vcc_lo
	v_cmp_le_u32_e32 vcc_lo, s18, v7
	;; [unrolled: 2-line block ×3, first 2 shown]
	v_cndmask_b32_e64 v15, 0, -1, vcc_lo
	v_cmp_eq_u32_e32 vcc_lo, s19, v10
	v_cndmask_b32_e64 v7, v15, v7, s0
	v_cndmask_b32_e32 v10, v14, v13, vcc_lo
	v_add_co_u32 v13, vcc_lo, v4, 1
	v_add_co_ci_u32_e32 v14, vcc_lo, 0, v9, vcc_lo
	v_cmp_ne_u32_e32 vcc_lo, 0, v10
	v_cndmask_b32_e32 v8, v14, v12, vcc_lo
	v_cndmask_b32_e32 v10, v13, v11, vcc_lo
	v_cmp_ne_u32_e32 vcc_lo, 0, v7
	v_cndmask_b32_e32 v8, v9, v8, vcc_lo
	v_cndmask_b32_e32 v7, v4, v10, vcc_lo
.LBB0_4:                                ;   in Loop: Header=BB0_2 Depth=1
	s_andn2_saveexec_b32 s0, s1
	s_cbranch_execz .LBB0_6
; %bb.5:                                ;   in Loop: Header=BB0_2 Depth=1
	v_cvt_f32_u32_e32 v4, s18
	s_sub_i32 s1, 0, s18
	v_rcp_iflag_f32_e32 v4, v4
	v_mul_f32_e32 v4, 0x4f7ffffe, v4
	v_cvt_u32_f32_e32 v4, v4
	v_mul_lo_u32 v7, s1, v4
	v_mul_hi_u32 v7, v4, v7
	v_add_nc_u32_e32 v4, v4, v7
	v_mul_hi_u32 v4, v5, v4
	v_mul_lo_u32 v7, v4, s18
	v_add_nc_u32_e32 v8, 1, v4
	v_sub_nc_u32_e32 v7, v5, v7
	v_subrev_nc_u32_e32 v9, s18, v7
	v_cmp_le_u32_e32 vcc_lo, s18, v7
	v_cndmask_b32_e32 v7, v7, v9, vcc_lo
	v_cndmask_b32_e32 v4, v4, v8, vcc_lo
	v_cmp_le_u32_e32 vcc_lo, s18, v7
	v_add_nc_u32_e32 v8, 1, v4
	v_cndmask_b32_e32 v7, v4, v8, vcc_lo
	v_mov_b32_e32 v8, v3
.LBB0_6:                                ;   in Loop: Header=BB0_2 Depth=1
	s_or_b32 exec_lo, exec_lo, s0
	s_load_dwordx2 s[0:1], s[6:7], 0x0
	v_mul_lo_u32 v4, v8, s18
	v_mul_lo_u32 v11, v7, s19
	v_mad_u64_u32 v[9:10], null, v7, s18, 0
	s_add_u32 s16, s16, 1
	s_addc_u32 s17, s17, 0
	s_add_u32 s6, s6, 8
	s_addc_u32 s7, s7, 0
	;; [unrolled: 2-line block ×3, first 2 shown]
	v_add3_u32 v4, v10, v11, v4
	v_sub_co_u32 v5, vcc_lo, v5, v9
	v_sub_co_ci_u32_e32 v4, vcc_lo, v6, v4, vcc_lo
	s_waitcnt lgkmcnt(0)
	v_mul_lo_u32 v6, s1, v5
	v_mul_lo_u32 v4, s0, v4
	v_mad_u64_u32 v[1:2], null, s0, v5, v[1:2]
	v_cmp_ge_u64_e64 s0, s[16:17], s[10:11]
	s_and_b32 vcc_lo, exec_lo, s0
	v_add3_u32 v2, v6, v2, v4
	s_cbranch_vccnz .LBB0_9
; %bb.7:                                ;   in Loop: Header=BB0_2 Depth=1
	v_mov_b32_e32 v5, v7
	v_mov_b32_e32 v6, v8
	s_branch .LBB0_2
.LBB0_8:
	v_mov_b32_e32 v8, v6
	v_mov_b32_e32 v7, v5
.LBB0_9:
	s_lshl_b64 s[0:1], s[10:11], 3
	v_mul_hi_u32 v3, 0x253c826, v0
	s_add_u32 s0, s12, s0
	s_addc_u32 s1, s13, s1
	v_mov_b32_e32 v46, 0
	s_load_dwordx2 s[0:1], s[0:1], 0x0
	s_load_dwordx2 s[4:5], s[4:5], 0x20
                                        ; implicit-def: $vgpr10_vgpr11
                                        ; implicit-def: $vgpr18_vgpr19
                                        ; implicit-def: $vgpr38_vgpr39
                                        ; implicit-def: $vgpr30_vgpr31
                                        ; implicit-def: $vgpr14_vgpr15
                                        ; implicit-def: $vgpr22_vgpr23
                                        ; implicit-def: $vgpr26_vgpr27
                                        ; implicit-def: $vgpr34_vgpr35
                                        ; implicit-def: $vgpr42_vgpr43
	s_waitcnt lgkmcnt(0)
	v_mul_lo_u32 v4, s0, v8
	v_mul_lo_u32 v5, s1, v7
	v_mad_u64_u32 v[44:45], null, s0, v7, v[1:2]
	v_mul_u32_u24_e32 v1, 0x6e, v3
	v_cmp_gt_u64_e32 vcc_lo, s[4:5], v[7:8]
                                        ; implicit-def: $vgpr6_vgpr7
                                        ; implicit-def: $vgpr2_vgpr3
	v_sub_nc_u32_e32 v47, v0, v1
	v_add3_u32 v45, v5, v45, v4
	s_and_saveexec_b32 s1, vcc_lo
	s_cbranch_execz .LBB0_13
; %bb.10:
	s_mov_b32 s4, exec_lo
                                        ; implicit-def: $vgpr0_vgpr1
                                        ; implicit-def: $vgpr40_vgpr41
                                        ; implicit-def: $vgpr32_vgpr33
                                        ; implicit-def: $vgpr24_vgpr25
                                        ; implicit-def: $vgpr20_vgpr21
                                        ; implicit-def: $vgpr12_vgpr13
                                        ; implicit-def: $vgpr28_vgpr29
                                        ; implicit-def: $vgpr36_vgpr37
                                        ; implicit-def: $vgpr16_vgpr17
                                        ; implicit-def: $vgpr8_vgpr9
                                        ; implicit-def: $vgpr4_vgpr5
	v_cmpx_gt_u32_e32 0x46, v47
	s_cbranch_execz .LBB0_12
; %bb.11:
	v_mov_b32_e32 v48, 0
	v_lshlrev_b64 v[0:1], 4, v[44:45]
	v_lshlrev_b64 v[2:3], 4, v[47:48]
	v_add_co_u32 v0, s0, s2, v0
	v_add_co_ci_u32_e64 v1, s0, s3, v1, s0
	v_add_co_u32 v4, s0, v0, v2
	v_add_co_ci_u32_e64 v5, s0, v1, v3, s0
	;; [unrolled: 2-line block ×4, first 2 shown]
	s_clause 0x5
	global_load_dwordx4 v[0:3], v[4:5], off
	global_load_dwordx4 v[40:43], v[4:5], off offset:1120
	global_load_dwordx4 v[32:35], v[6:7], off offset:192
	;; [unrolled: 1-line block ×5, first 2 shown]
	v_add_co_u32 v6, s0, 0x1800, v4
	v_add_co_ci_u32_e64 v7, s0, 0, v5, s0
	v_add_co_u32 v8, s0, 0x2000, v4
	v_add_co_ci_u32_e64 v9, s0, 0, v5, s0
	;; [unrolled: 2-line block ×3, first 2 shown]
	s_clause 0x4
	global_load_dwordx4 v[28:31], v[6:7], off offset:576
	global_load_dwordx4 v[36:39], v[6:7], off offset:1696
	global_load_dwordx4 v[16:19], v[8:9], off offset:768
	global_load_dwordx4 v[8:11], v[8:9], off offset:1888
	global_load_dwordx4 v[4:7], v[4:5], off offset:960
.LBB0_12:
	s_or_b32 exec_lo, exec_lo, s4
	v_mov_b32_e32 v46, v47
.LBB0_13:
	s_or_b32 exec_lo, exec_lo, s1
	s_waitcnt vmcnt(9)
	v_add_f64 v[48:49], v[40:41], v[0:1]
	v_add_f64 v[50:51], v[42:43], v[2:3]
	s_waitcnt vmcnt(0)
	v_add_f64 v[86:87], v[42:43], -v[6:7]
	v_add_f64 v[89:90], v[40:41], -v[4:5]
	;; [unrolled: 1-line block ×3, first 2 shown]
	v_add_f64 v[58:59], v[8:9], v[32:33]
	s_mov_b32 s0, 0xf8bb580b
	s_mov_b32 s6, 0xd9c712b6
	;; [unrolled: 1-line block ×4, first 2 shown]
	v_add_f64 v[78:79], v[34:35], -v[10:11]
	v_add_f64 v[56:57], v[18:19], v[26:27]
	v_add_f64 v[64:65], v[38:39], v[22:23]
	;; [unrolled: 1-line block ×3, first 2 shown]
	s_mov_b32 s14, 0x8eee2c13
	s_mov_b32 s4, 0x8764f0ba
	;; [unrolled: 1-line block ×8, first 2 shown]
	v_add_f64 v[48:49], v[32:33], v[48:49]
	v_add_f64 v[50:51], v[34:35], v[50:51]
	v_mul_f64 v[70:71], v[86:87], s[0:1]
	v_mul_f64 v[82:83], v[89:90], s[0:1]
	s_mov_b32 s21, 0x3fefac9e
	s_mov_b32 s19, 0xbfefac9e
	;; [unrolled: 1-line block ×6, first 2 shown]
	v_add_f64 v[62:63], v[10:11], v[34:35]
	v_mul_f64 v[76:77], v[78:79], s[16:17]
	v_mul_f64 v[80:81], v[91:92], s[16:17]
	s_mov_b32 s26, 0xbb3a28a1
	s_mov_b32 s30, 0xfd768dbf
	;; [unrolled: 1-line block ×8, first 2 shown]
	v_mul_f64 v[93:94], v[58:59], s[22:23]
	v_add_f64 v[48:49], v[24:25], v[48:49]
	v_add_f64 v[50:51], v[26:27], v[50:51]
	v_mul_f64 v[34:35], v[91:92], s[24:25]
	v_mul_f64 v[97:98], v[91:92], s[30:31]
	s_mov_b32 s29, 0xbfd207e7
	s_mov_b32 s28, s30
	;; [unrolled: 1-line block ×4, first 2 shown]
	v_and_b32_e32 v88, 1, v88
	v_fma_f64 v[109:110], v[58:59], s[6:7], -v[76:77]
	v_fma_f64 v[113:114], v[62:63], s[6:7], v[80:81]
	v_fma_f64 v[121:122], v[78:79], s[28:29], v[93:94]
	v_add_f64 v[48:49], v[20:21], v[48:49]
	v_add_f64 v[50:51], v[22:23], v[50:51]
	v_fma_f64 v[119:120], v[62:63], s[10:11], v[34:35]
	v_fma_f64 v[34:35], v[62:63], s[10:11], -v[34:35]
	v_add_f64 v[52:53], v[12:13], v[48:49]
	v_add_f64 v[54:55], v[14:15], v[50:51]
	;; [unrolled: 1-line block ×4, first 2 shown]
	v_add_f64 v[42:43], v[24:25], -v[16:17]
	v_add_f64 v[40:41], v[26:27], -v[18:19]
	v_add_f64 v[32:33], v[28:29], v[52:53]
	v_add_f64 v[66:67], v[30:31], v[54:55]
	;; [unrolled: 1-line block ×4, first 2 shown]
	v_add_f64 v[24:25], v[20:21], -v[36:37]
	v_add_f64 v[20:21], v[22:23], -v[38:39]
	;; [unrolled: 1-line block ×4, first 2 shown]
	v_fma_f64 v[95:96], v[48:49], s[4:5], -v[70:71]
	v_fma_f64 v[99:100], v[50:51], s[4:5], v[82:83]
	v_mul_f64 v[72:73], v[40:41], s[18:19]
	v_mul_f64 v[74:75], v[42:43], s[18:19]
	v_mul_f64 v[107:108], v[48:49], s[22:23]
	v_add_f64 v[26:27], v[36:37], v[32:33]
	v_add_f64 v[28:29], v[38:39], v[66:67]
	;; [unrolled: 1-line block ×3, first 2 shown]
	v_mul_f64 v[14:15], v[48:49], s[6:7]
	v_mul_f64 v[30:31], v[89:90], s[16:17]
	;; [unrolled: 1-line block ×5, first 2 shown]
	v_add_f64 v[95:96], v[0:1], v[95:96]
	v_add_f64 v[99:100], v[2:3], v[99:100]
	v_mul_f64 v[38:39], v[42:43], s[30:31]
	v_mul_f64 v[101:102], v[54:55], s[6:7]
	v_fma_f64 v[123:124], v[86:87], s[30:31], v[107:108]
	v_mul_f64 v[84:85], v[24:25], s[24:25]
	v_add_f64 v[16:17], v[16:17], v[26:27]
	v_add_f64 v[18:19], v[18:19], v[28:29]
	v_mul_f64 v[26:27], v[48:49], s[12:13]
	v_mul_f64 v[28:29], v[89:90], s[18:19]
	v_fma_f64 v[103:104], v[86:87], s[14:15], v[14:15]
	v_fma_f64 v[105:106], v[50:51], s[6:7], v[30:31]
	;; [unrolled: 1-line block ×3, first 2 shown]
	v_fma_f64 v[30:31], v[50:51], s[6:7], -v[30:31]
	v_fma_f64 v[117:118], v[78:79], s[26:27], v[32:33]
	v_fma_f64 v[32:33], v[78:79], s[24:25], v[32:33]
	v_add_f64 v[95:96], v[109:110], v[95:96]
	v_add_f64 v[99:100], v[113:114], v[99:100]
	v_mul_f64 v[109:110], v[52:53], s[12:13]
	v_mul_f64 v[113:114], v[24:25], s[20:21]
	v_add_f64 v[123:124], v[0:1], v[123:124]
	v_add_f64 v[8:9], v[8:9], v[16:17]
	;; [unrolled: 1-line block ×3, first 2 shown]
	v_mul_f64 v[18:19], v[48:49], s[10:11]
	v_fma_f64 v[111:112], v[86:87], s[20:21], v[26:27]
	v_fma_f64 v[115:116], v[50:51], s[12:13], v[28:29]
	;; [unrolled: 1-line block ×3, first 2 shown]
	v_fma_f64 v[28:29], v[50:51], s[12:13], -v[28:29]
	v_add_f64 v[103:104], v[0:1], v[103:104]
	v_mul_f64 v[16:17], v[42:43], s[14:15]
	v_add_f64 v[105:106], v[2:3], v[105:106]
	v_add_f64 v[14:15], v[0:1], v[14:15]
	;; [unrolled: 1-line block ×5, first 2 shown]
	v_fma_f64 v[8:9], v[62:63], s[22:23], v[97:98]
	v_fma_f64 v[10:11], v[78:79], s[30:31], v[93:94]
	v_fma_f64 v[93:94], v[62:63], s[22:23], -v[97:98]
	v_fma_f64 v[97:98], v[86:87], s[26:27], v[18:19]
	v_add_f64 v[111:112], v[0:1], v[111:112]
	v_fma_f64 v[18:19], v[86:87], s[24:25], v[18:19]
	v_add_f64 v[115:116], v[2:3], v[115:116]
	v_add_f64 v[26:27], v[0:1], v[26:27]
	v_fma_f64 v[86:87], v[86:87], s[28:29], v[107:108]
	v_add_f64 v[28:29], v[2:3], v[28:29]
	v_fma_f64 v[107:108], v[54:55], s[12:13], -v[72:73]
	v_add_f64 v[103:104], v[117:118], v[103:104]
	v_fma_f64 v[117:118], v[56:57], s[12:13], v[74:75]
	v_add_f64 v[105:106], v[119:120], v[105:106]
	v_fma_f64 v[119:120], v[40:41], s[28:29], v[36:37]
	v_add_f64 v[14:15], v[32:33], v[14:15]
	v_fma_f64 v[32:33], v[56:57], s[22:23], v[38:39]
	v_fma_f64 v[36:37], v[40:41], s[30:31], v[36:37]
	v_add_f64 v[30:31], v[34:35], v[30:31]
	v_mul_f64 v[34:35], v[89:90], s[24:25]
	v_fma_f64 v[38:39], v[56:57], s[22:23], -v[38:39]
	v_mul_f64 v[89:90], v[89:90], s[28:29]
	v_add_f64 v[97:98], v[0:1], v[97:98]
	v_add_f64 v[111:112], v[121:122], v[111:112]
	v_fma_f64 v[121:122], v[40:41], s[16:17], v[101:102]
	v_add_f64 v[8:9], v[8:9], v[115:116]
	v_mul_f64 v[115:116], v[52:53], s[4:5]
	v_add_f64 v[10:11], v[10:11], v[26:27]
	v_mul_f64 v[26:27], v[24:25], s[0:1]
	v_add_f64 v[28:29], v[93:94], v[28:29]
	v_fma_f64 v[93:94], v[56:57], s[6:7], v[16:17]
	v_add_f64 v[95:96], v[107:108], v[95:96]
	v_fma_f64 v[101:102], v[40:41], s[14:15], v[101:102]
	v_fma_f64 v[16:17], v[56:57], s[6:7], -v[16:17]
	v_add_f64 v[99:100], v[117:118], v[99:100]
	v_fma_f64 v[117:118], v[52:53], s[10:11], -v[68:69]
	v_mul_f64 v[107:108], v[58:59], s[12:13]
	v_add_f64 v[103:104], v[119:120], v[103:104]
	v_mul_f64 v[119:120], v[91:92], s[20:21]
	v_add_f64 v[32:33], v[32:33], v[105:106]
	v_fma_f64 v[105:106], v[64:65], s[10:11], v[84:85]
	v_add_f64 v[14:15], v[36:37], v[14:15]
	v_fma_f64 v[36:37], v[20:21], s[18:19], v[109:110]
	;; [unrolled: 2-line block ×3, first 2 shown]
	v_fma_f64 v[109:110], v[20:21], s[20:21], v[109:110]
	v_add_f64 v[111:112], v[121:122], v[111:112]
	v_fma_f64 v[121:122], v[64:65], s[12:13], v[113:114]
	v_fma_f64 v[113:114], v[64:65], s[12:13], -v[113:114]
	v_fma_f64 v[34:35], v[50:51], s[10:11], -v[34:35]
	v_mul_f64 v[91:92], v[91:92], s[34:35]
	v_add_f64 v[18:19], v[0:1], v[18:19]
	v_add_f64 v[8:9], v[93:94], v[8:9]
	v_mul_f64 v[93:94], v[58:59], s[4:5]
	v_add_f64 v[10:11], v[101:102], v[10:11]
	v_fma_f64 v[101:102], v[20:21], s[34:35], v[115:116]
	v_add_f64 v[16:17], v[16:17], v[28:29]
	v_fma_f64 v[28:29], v[50:51], s[22:23], v[89:90]
	;; [unrolled: 2-line block ×3, first 2 shown]
	v_fma_f64 v[89:90], v[50:51], s[22:23], -v[89:90]
	v_add_f64 v[86:87], v[0:1], v[86:87]
	v_add_f64 v[99:100], v[105:106], v[99:100]
	v_fma_f64 v[105:106], v[78:79], s[18:19], v[107:108]
	v_add_f64 v[36:37], v[36:37], v[103:104]
	v_fma_f64 v[103:104], v[62:63], s[12:13], v[119:120]
	v_add_f64 v[38:39], v[2:3], v[38:39]
	v_add_f64 v[109:110], v[109:110], v[14:15]
	v_mul_f64 v[14:15], v[42:43], s[0:1]
	v_add_f64 v[32:33], v[121:122], v[32:33]
	v_mul_f64 v[121:122], v[54:55], s[4:5]
	v_fma_f64 v[107:108], v[78:79], s[20:21], v[107:108]
	v_fma_f64 v[119:120], v[62:63], s[12:13], -v[119:120]
	v_add_f64 v[34:35], v[2:3], v[34:35]
	v_add_f64 v[30:31], v[113:114], v[30:31]
	v_fma_f64 v[113:114], v[78:79], s[0:1], v[93:94]
	v_fma_f64 v[93:94], v[78:79], s[34:35], v[93:94]
	v_add_f64 v[101:102], v[101:102], v[111:112]
	v_mul_f64 v[42:43], v[42:43], s[24:25]
	v_add_f64 v[28:29], v[2:3], v[28:29]
	v_fma_f64 v[115:116], v[20:21], s[0:1], v[115:116]
	v_add_f64 v[111:112], v[117:118], v[8:9]
	v_fma_f64 v[8:9], v[62:63], s[4:5], v[91:92]
	v_mul_f64 v[117:118], v[54:55], s[10:11]
	v_add_f64 v[89:90], v[2:3], v[89:90]
	v_fma_f64 v[91:92], v[62:63], s[4:5], -v[91:92]
	v_add_f64 v[97:98], v[105:106], v[97:98]
	v_mul_f64 v[105:106], v[52:53], s[22:23]
	v_add_f64 v[38:39], v[103:104], v[38:39]
	v_fma_f64 v[26:27], v[64:65], s[4:5], -v[26:27]
	v_mul_f64 v[78:79], v[12:13], s[28:29]
	v_fma_f64 v[103:104], v[40:41], s[34:35], v[121:122]
	v_add_f64 v[18:19], v[107:108], v[18:19]
	v_fma_f64 v[107:108], v[56:57], s[4:5], v[14:15]
	v_add_f64 v[34:35], v[119:120], v[34:35]
	v_mul_f64 v[119:120], v[24:25], s[28:29]
	v_fma_f64 v[121:122], v[40:41], s[0:1], v[121:122]
	v_fma_f64 v[14:15], v[56:57], s[4:5], -v[14:15]
	v_add_f64 v[113:114], v[113:114], v[123:124]
	v_mul_f64 v[123:124], v[52:53], s[6:7]
	v_add_f64 v[93:94], v[93:94], v[86:87]
	v_fma_f64 v[125:126], v[56:57], s[10:11], v[42:43]
	v_mul_f64 v[24:25], v[24:25], s[14:15]
	v_add_f64 v[8:9], v[8:9], v[28:29]
	v_fma_f64 v[28:29], v[40:41], s[26:27], v[117:118]
	v_fma_f64 v[40:41], v[40:41], s[24:25], v[117:118]
	v_add_f64 v[89:90], v[91:92], v[89:90]
	v_fma_f64 v[42:43], v[56:57], s[10:11], -v[42:43]
	v_mul_f64 v[86:87], v[22:23], s[28:29]
	v_fma_f64 v[91:92], v[20:21], s[30:31], v[105:106]
	v_add_f64 v[115:116], v[115:116], v[10:11]
	v_mul_f64 v[10:11], v[60:61], s[4:5]
	v_mul_f64 v[117:118], v[22:23], s[34:35]
	v_add_f64 v[97:98], v[103:104], v[97:98]
	v_fma_f64 v[105:106], v[20:21], s[28:29], v[105:106]
	v_add_f64 v[38:39], v[107:108], v[38:39]
	v_add_f64 v[16:17], v[26:27], v[16:17]
	v_fma_f64 v[107:108], v[64:65], s[22:23], v[119:120]
	v_add_f64 v[18:19], v[121:122], v[18:19]
	v_mul_f64 v[26:27], v[60:61], s[10:11]
	v_add_f64 v[14:15], v[14:15], v[34:35]
	v_fma_f64 v[34:35], v[64:65], s[22:23], -v[119:120]
	v_mul_f64 v[119:120], v[22:23], s[24:25]
	v_fma_f64 v[103:104], v[60:61], s[22:23], -v[78:79]
	v_fma_f64 v[121:122], v[64:65], s[6:7], v[24:25]
	v_add_f64 v[8:9], v[125:126], v[8:9]
	v_add_f64 v[28:29], v[28:29], v[113:114]
	v_fma_f64 v[113:114], v[20:21], s[16:17], v[123:124]
	v_add_f64 v[40:41], v[40:41], v[93:94]
	v_mul_f64 v[93:94], v[60:61], s[6:7]
	v_fma_f64 v[20:21], v[20:21], s[14:15], v[123:124]
	v_mul_f64 v[123:124], v[22:23], s[14:15]
	v_add_f64 v[42:43], v[42:43], v[89:90]
	v_fma_f64 v[24:25], v[64:65], s[6:7], -v[24:25]
	v_mul_f64 v[89:90], v[60:61], s[12:13]
	v_mul_f64 v[22:23], v[22:23], s[18:19]
	v_add_f64 v[91:92], v[91:92], v[97:98]
	v_fma_f64 v[97:98], v[66:67], s[22:23], v[86:87]
	v_fma_f64 v[125:126], v[12:13], s[34:35], v[10:11]
	v_add_f64 v[38:39], v[107:108], v[38:39]
	v_fma_f64 v[107:108], v[12:13], s[0:1], v[10:11]
	v_add_f64 v[105:106], v[105:106], v[18:19]
	v_fma_f64 v[18:19], v[66:67], s[4:5], v[117:118]
	v_fma_f64 v[117:118], v[66:67], s[4:5], -v[117:118]
	v_add_f64 v[34:35], v[34:35], v[14:15]
	v_fma_f64 v[127:128], v[12:13], s[26:27], v[26:27]
	v_fma_f64 v[129:130], v[66:67], s[10:11], v[119:120]
	;; [unrolled: 1-line block ×3, first 2 shown]
	v_fma_f64 v[119:120], v[66:67], s[10:11], -v[119:120]
	v_add_f64 v[113:114], v[113:114], v[28:29]
	v_add_f64 v[121:122], v[121:122], v[8:9]
	v_fma_f64 v[131:132], v[12:13], s[16:17], v[93:94]
	v_add_f64 v[20:21], v[20:21], v[40:41]
	v_fma_f64 v[133:134], v[66:67], s[6:7], v[123:124]
	v_fma_f64 v[93:94], v[12:13], s[14:15], v[93:94]
	v_fma_f64 v[123:124], v[66:67], s[6:7], -v[123:124]
	v_add_f64 v[135:136], v[24:25], v[42:43]
	v_fma_f64 v[137:138], v[12:13], s[20:21], v[89:90]
	v_fma_f64 v[89:90], v[12:13], s[18:19], v[89:90]
	;; [unrolled: 1-line block ×3, first 2 shown]
	v_fma_f64 v[22:23], v[66:67], s[12:13], -v[22:23]
	v_add_f64 v[12:13], v[103:104], v[95:96]
	v_add_f64 v[14:15], v[97:98], v[99:100]
	;; [unrolled: 1-line block ×10, first 2 shown]
	v_cmp_eq_u32_e64 s0, 1, v88
	s_mov_b32 s1, exec_lo
	v_add_f64 v[16:17], v[131:132], v[91:92]
	v_add_f64 v[18:19], v[133:134], v[38:39]
	;; [unrolled: 1-line block ×4, first 2 shown]
	v_cndmask_b32_e64 v88, 0, 0x302, s0
	v_add_f64 v[32:33], v[137:138], v[113:114]
	v_add_f64 v[20:21], v[89:90], v[20:21]
	;; [unrolled: 1-line block ×4, first 2 shown]
	v_lshlrev_b32_e32 v88, 4, v88
	v_cmpx_gt_u32_e32 0x46, v47
	s_cbranch_execz .LBB0_15
; %bb.14:
	v_mul_f64 v[50:51], v[50:51], s[4:5]
	v_mul_f64 v[48:49], v[48:49], s[4:5]
	;; [unrolled: 1-line block ×6, first 2 shown]
	v_add_f64 v[50:51], v[50:51], -v[82:83]
	v_add_f64 v[48:49], v[70:71], v[48:49]
	v_add_f64 v[62:63], v[62:63], -v[80:81]
	v_add_f64 v[58:59], v[76:77], v[58:59]
	v_add_f64 v[54:55], v[72:73], v[54:55]
	;; [unrolled: 1-line block ×4, first 2 shown]
	v_mul_f64 v[48:49], v[52:53], s[10:11]
	v_mul_f64 v[50:51], v[64:65], s[10:11]
	v_add_f64 v[52:53], v[56:57], -v[74:75]
	v_mul_f64 v[56:57], v[60:61], s[22:23]
	v_add_f64 v[2:3], v[62:63], v[2:3]
	v_add_f64 v[0:1], v[58:59], v[0:1]
	v_mul_f64 v[58:59], v[66:67], s[22:23]
	v_add_f64 v[50:51], v[50:51], -v[84:85]
	v_add_f64 v[48:49], v[68:69], v[48:49]
	v_add_f64 v[2:3], v[52:53], v[2:3]
	;; [unrolled: 1-line block ×3, first 2 shown]
	v_add_f64 v[52:53], v[58:59], -v[86:87]
	v_add_f64 v[54:55], v[78:79], v[56:57]
	v_add_f64 v[2:3], v[50:51], v[2:3]
	;; [unrolled: 1-line block ×3, first 2 shown]
	v_mul_u32_u24_e32 v48, 0xb0, v47
	v_add3_u32 v48, 0, v48, v88
	v_add_f64 v[2:3], v[52:53], v[2:3]
	v_add_f64 v[0:1], v[54:55], v[0:1]
	ds_write_b128 v48, v[4:7]
	ds_write_b128 v48, v[12:15] offset:16
	ds_write_b128 v48, v[8:11] offset:32
	ds_write_b128 v48, v[28:31] offset:48
	ds_write_b128 v48, v[16:19] offset:64
	ds_write_b128 v48, v[32:35] offset:80
	ds_write_b128 v48, v[20:23] offset:96
	ds_write_b128 v48, v[36:39] offset:112
	ds_write_b128 v48, v[24:27] offset:128
	ds_write_b128 v48, v[40:43] offset:144
	ds_write_b128 v48, v[0:3] offset:160
.LBB0_15:
	s_or_b32 exec_lo, exec_lo, s1
	v_cmp_gt_u32_e64 s0, 0x4d, v47
	v_lshlrev_b32_e32 v0, 4, v47
	s_waitcnt lgkmcnt(0)
	s_barrier
	buffer_gl0_inv
	s_and_saveexec_b32 s1, s0
	s_cbranch_execz .LBB0_17
; %bb.16:
	v_add3_u32 v1, 0, v88, v0
	v_add3_u32 v2, 0, v0, v88
	ds_read_b128 v[4:7], v1
	ds_read_b128 v[12:15], v2 offset:1232
	ds_read_b128 v[8:11], v2 offset:2464
	;; [unrolled: 1-line block ×9, first 2 shown]
.LBB0_17:
	s_or_b32 exec_lo, exec_lo, s1
	s_waitcnt lgkmcnt(0)
	s_barrier
	buffer_gl0_inv
	s_and_saveexec_b32 s16, s0
	s_cbranch_execz .LBB0_19
; %bb.18:
	v_and_b32_e32 v1, 0xff, v47
	s_mov_b32 s0, 0x134454ff
	s_mov_b32 s1, 0x3fee6f0e
	;; [unrolled: 1-line block ×4, first 2 shown]
	v_mul_lo_u16 v1, 0x75, v1
	s_mov_b32 s4, 0x4755a5e
	s_mov_b32 s5, 0x3fe2cf23
	;; [unrolled: 1-line block ×4, first 2 shown]
	v_lshrrev_b16 v1, 8, v1
	s_mov_b32 s6, 0x372fe950
	s_mov_b32 s7, 0x3fd3c6ef
	;; [unrolled: 1-line block ×4, first 2 shown]
	v_sub_nc_u16 v2, v47, v1
	v_lshrrev_b16 v2, 1, v2
	v_and_b32_e32 v2, 0x7f, v2
	v_add_nc_u16 v1, v2, v1
	v_mov_b32_e32 v2, 9
	v_lshrrev_b16 v115, 3, v1
	v_mul_lo_u16 v1, v115, 11
	v_sub_nc_u16 v1, v47, v1
	v_mul_u32_u24_sdwa v2, v1, v2 dst_sel:DWORD dst_unused:UNUSED_PAD src0_sel:BYTE_0 src1_sel:DWORD
	v_lshlrev_b32_e32 v2, 4, v2
	s_clause 0x8
	global_load_dwordx4 v[48:51], v2, s[8:9] offset:32
	global_load_dwordx4 v[52:55], v2, s[8:9] offset:64
	;; [unrolled: 1-line block ×8, first 2 shown]
	global_load_dwordx4 v[80:83], v2, s[8:9]
	s_waitcnt vmcnt(8)
	v_mul_f64 v[2:3], v[30:31], v[50:51]
	s_waitcnt vmcnt(7)
	v_mul_f64 v[84:85], v[34:35], v[54:55]
	v_mul_f64 v[50:51], v[28:29], v[50:51]
	;; [unrolled: 1-line block ×3, first 2 shown]
	s_waitcnt vmcnt(6)
	v_mul_f64 v[86:87], v[36:37], v[58:59]
	s_waitcnt vmcnt(5)
	v_mul_f64 v[89:90], v[40:41], v[62:63]
	v_mul_f64 v[62:63], v[42:43], v[62:63]
	;; [unrolled: 1-line block ×3, first 2 shown]
	s_waitcnt vmcnt(0)
	v_mul_f64 v[99:100], v[14:15], v[82:83]
	v_mul_f64 v[82:83], v[12:13], v[82:83]
	;; [unrolled: 1-line block ×6, first 2 shown]
	v_fma_f64 v[2:3], v[28:29], v[48:49], -v[2:3]
	v_fma_f64 v[28:29], v[32:33], v[52:53], -v[84:85]
	v_fma_f64 v[30:31], v[30:31], v[48:49], v[50:51]
	v_fma_f64 v[32:33], v[34:35], v[52:53], v[54:55]
	;; [unrolled: 1-line block ×4, first 2 shown]
	v_fma_f64 v[40:41], v[40:41], v[60:61], -v[62:63]
	v_fma_f64 v[36:37], v[36:37], v[56:57], -v[58:59]
	v_mul_f64 v[42:43], v[18:19], v[70:71]
	v_mul_f64 v[48:49], v[22:23], v[78:79]
	;; [unrolled: 1-line block ×4, first 2 shown]
	v_fma_f64 v[12:13], v[12:13], v[80:81], -v[99:100]
	v_fma_f64 v[14:15], v[14:15], v[80:81], v[82:83]
	v_fma_f64 v[10:11], v[10:11], v[64:65], v[91:92]
	;; [unrolled: 1-line block ×5, first 2 shown]
	v_add_f64 v[86:87], v[28:29], -v[2:3]
	v_add_f64 v[91:92], v[32:33], -v[30:31]
	v_add_f64 v[54:55], v[32:33], v[34:35]
	v_add_f64 v[56:57], v[30:31], v[38:39]
	v_add_f64 v[58:59], v[2:3], v[40:41]
	v_add_f64 v[60:61], v[28:29], v[36:37]
	v_fma_f64 v[16:17], v[16:17], v[68:69], -v[42:43]
	v_fma_f64 v[20:21], v[20:21], v[76:77], -v[48:49]
	;; [unrolled: 1-line block ×4, first 2 shown]
	v_add_f64 v[42:43], v[30:31], -v[38:39]
	v_add_f64 v[48:49], v[32:33], -v[34:35]
	;; [unrolled: 1-line block ×5, first 2 shown]
	v_add_f64 v[70:71], v[18:19], v[22:23]
	v_add_f64 v[74:75], v[40:41], -v[36:37]
	v_add_f64 v[76:77], v[30:31], -v[32:33]
	;; [unrolled: 1-line block ×3, first 2 shown]
	v_add_f64 v[84:85], v[10:11], v[26:27]
	v_add_f64 v[89:90], v[36:37], -v[40:41]
	v_add_f64 v[93:94], v[34:35], -v[38:39]
	v_add_f64 v[95:96], v[6:7], v[10:11]
	v_add_f64 v[2:3], v[12:13], v[2:3]
	v_fma_f64 v[54:55], v[54:55], -0.5, v[14:15]
	v_fma_f64 v[56:57], v[56:57], -0.5, v[14:15]
	;; [unrolled: 1-line block ×4, first 2 shown]
	v_add_f64 v[14:15], v[14:15], v[30:31]
	v_add_f64 v[103:104], v[16:17], v[20:21]
	;; [unrolled: 1-line block ×4, first 2 shown]
	v_add_f64 v[62:63], v[10:11], -v[18:19]
	v_add_f64 v[64:65], v[26:27], -v[22:23]
	;; [unrolled: 1-line block ×8, first 2 shown]
	v_fma_f64 v[12:13], v[70:71], -0.5, v[6:7]
	v_add_f64 v[70:71], v[72:73], v[74:75]
	v_add_f64 v[72:73], v[76:77], v[78:79]
	v_fma_f64 v[6:7], v[84:85], -0.5, v[6:7]
	v_add_f64 v[74:75], v[86:87], v[89:90]
	v_add_f64 v[76:77], v[91:92], v[93:94]
	v_fma_f64 v[30:31], v[52:53], s[0:1], v[54:55]
	v_fma_f64 v[97:98], v[50:51], s[12:13], v[56:57]
	;; [unrolled: 1-line block ×8, first 2 shown]
	v_fma_f64 v[89:90], v[103:104], -0.5, v[4:5]
	v_fma_f64 v[4:5], v[105:106], -0.5, v[4:5]
	v_add_f64 v[107:108], v[8:9], -v[16:17]
	v_add_f64 v[8:9], v[16:17], -v[8:9]
	v_add_f64 v[18:19], v[95:96], v[18:19]
	v_add_f64 v[14:15], v[14:15], v[32:33]
	;; [unrolled: 1-line block ×4, first 2 shown]
	v_add_f64 v[109:110], v[24:25], -v[20:21]
	v_fma_f64 v[28:29], v[68:69], s[0:1], v[12:13]
	v_fma_f64 v[12:13], v[68:69], s[12:13], v[12:13]
	v_fma_f64 v[32:33], v[66:67], s[12:13], v[6:7]
	v_fma_f64 v[6:7], v[66:67], s[0:1], v[6:7]
	v_add_f64 v[91:92], v[20:21], -v[24:25]
	v_fma_f64 v[30:31], v[50:51], s[4:5], v[30:31]
	v_fma_f64 v[78:79], v[52:53], s[4:5], v[97:98]
	v_fma_f64 v[84:85], v[42:43], s[4:5], v[99:100]
	v_fma_f64 v[86:87], v[48:49], s[4:5], v[101:102]
	v_fma_f64 v[50:51], v[50:51], s[14:15], v[54:55]
	v_fma_f64 v[52:53], v[52:53], s[14:15], v[56:57]
	v_fma_f64 v[42:43], v[42:43], s[14:15], v[58:59]
	v_fma_f64 v[48:49], v[48:49], s[14:15], v[60:61]
	v_add_f64 v[54:55], v[62:63], v[64:65]
	v_add_f64 v[56:57], v[80:81], v[82:83]
	v_fma_f64 v[80:81], v[10:11], s[0:1], v[89:90]
	v_fma_f64 v[64:65], v[10:11], s[12:13], v[89:90]
	v_add_f64 v[18:19], v[18:19], v[22:23]
	v_add_f64 v[14:15], v[14:15], v[34:35]
	;; [unrolled: 1-line block ×4, first 2 shown]
	v_fma_f64 v[20:21], v[66:67], s[4:5], v[28:29]
	v_fma_f64 v[12:13], v[66:67], s[14:15], v[12:13]
	;; [unrolled: 1-line block ×4, first 2 shown]
	v_add_f64 v[8:9], v[8:9], v[91:92]
	v_fma_f64 v[30:31], v[72:73], s[6:7], v[30:31]
	v_fma_f64 v[58:59], v[76:77], s[6:7], v[78:79]
	;; [unrolled: 1-line block ×10, first 2 shown]
	v_add_f64 v[70:71], v[107:108], v[109:110]
	v_fma_f64 v[64:65], v[111:112], s[14:15], v[64:65]
	v_add_f64 v[18:19], v[18:19], v[26:27]
	v_add_f64 v[14:15], v[14:15], v[38:39]
	;; [unrolled: 1-line block ×4, first 2 shown]
	v_fma_f64 v[26:27], v[54:55], s[6:7], v[20:21]
	v_fma_f64 v[40:41], v[54:55], s[6:7], v[12:13]
	;; [unrolled: 1-line block ×4, first 2 shown]
	v_mul_f64 v[28:29], v[30:31], s[10:11]
	v_mul_f64 v[32:33], v[58:59], s[6:7]
	;; [unrolled: 1-line block ×4, first 2 shown]
	v_fma_f64 v[66:67], v[10:11], s[14:15], v[78:79]
	v_fma_f64 v[4:5], v[10:11], s[4:5], v[4:5]
	;; [unrolled: 1-line block ×3, first 2 shown]
	v_mul_f64 v[68:69], v[50:51], s[4:5]
	v_mul_f64 v[72:73], v[52:53], s[0:1]
	v_mul_f64 v[74:75], v[42:43], s[6:7]
	v_mul_f64 v[76:77], v[48:49], s[10:11]
	v_add_f64 v[6:7], v[16:17], v[24:25]
	v_add_f64 v[2:3], v[16:17], -v[24:25]
	v_fma_f64 v[28:29], v[48:49], s[14:15], -v[28:29]
	v_fma_f64 v[32:33], v[42:43], s[12:13], -v[32:33]
	v_fma_f64 v[34:35], v[52:53], s[6:7], v[34:35]
	v_fma_f64 v[42:43], v[50:51], s[10:11], v[36:37]
	;; [unrolled: 1-line block ×7, first 2 shown]
	v_fma_f64 v[58:59], v[58:59], s[0:1], -v[74:75]
	v_fma_f64 v[48:49], v[70:71], s[6:7], v[64:65]
	v_fma_f64 v[60:61], v[30:31], s[4:5], -v[76:77]
	v_add_f64 v[8:9], v[18:19], v[14:15]
	v_add_f64 v[4:5], v[18:19], -v[14:15]
	v_mov_b32_e32 v62, 4
	v_and_b32_e32 v63, 0xffff, v115
	v_lshlrev_b32_sdwa v1, v62, v1 dst_sel:DWORD dst_unused:UNUSED_PAD src0_sel:DWORD src1_sel:BYTE_0
	v_add_f64 v[12:13], v[26:27], -v[28:29]
	v_add_f64 v[16:17], v[22:23], -v[32:33]
	;; [unrolled: 1-line block ×4, first 2 shown]
	v_add_f64 v[36:37], v[38:39], v[34:35]
	v_add_f64 v[40:41], v[40:41], v[42:43]
	;; [unrolled: 1-line block ×8, first 2 shown]
	v_add_f64 v[22:23], v[10:11], -v[54:55]
	v_add_f64 v[18:19], v[52:53], -v[56:57]
	;; [unrolled: 1-line block ×4, first 2 shown]
	v_mad_u32_u24 v42, 0x6e0, v63, 0
	v_add3_u32 v1, v42, v1, v88
	ds_write_b128 v1, v[6:9]
	ds_write_b128 v1, v[2:5] offset:880
	ds_write_b128 v1, v[38:41] offset:176
	;; [unrolled: 1-line block ×9, first 2 shown]
.LBB0_19:
	s_or_b32 exec_lo, exec_lo, s16
	s_waitcnt lgkmcnt(0)
	s_barrier
	buffer_gl0_inv
	s_and_saveexec_b32 s0, vcc_lo
	s_cbranch_execz .LBB0_21
; %bb.20:
	v_mul_u32_u24_e32 v1, 6, v47
	v_add3_u32 v41, 0, v0, v88
	v_add3_u32 v0, 0, v88, v0
	s_mov_b32 s0, 0xe976ee23
	s_mov_b32 s1, 0xbfe11646
	v_lshlrev_b32_e32 v21, 4, v1
	s_mov_b32 s6, 0x37e14327
	s_mov_b32 s7, 0x3fe948f6
	;; [unrolled: 1-line block ×4, first 2 shown]
	s_clause 0x5
	global_load_dwordx4 v[1:4], v21, s[8:9] offset:1600
	global_load_dwordx4 v[5:8], v21, s[8:9] offset:1648
	;; [unrolled: 1-line block ×6, first 2 shown]
	ds_read_b128 v[25:28], v41 offset:3520
	ds_read_b128 v[29:32], v41 offset:8800
	;; [unrolled: 1-line block ×6, first 2 shown]
	s_mov_b32 s8, 0xaaaaaaaa
	s_mov_b32 s9, 0xbff2aaaa
	;; [unrolled: 1-line block ×4, first 2 shown]
	s_waitcnt vmcnt(5) lgkmcnt(5)
	v_mul_f64 v[41:42], v[3:4], v[27:28]
	s_waitcnt vmcnt(4) lgkmcnt(4)
	v_mul_f64 v[55:56], v[7:8], v[31:32]
	v_mul_f64 v[27:28], v[1:2], v[27:28]
	v_mul_f64 v[31:32], v[5:6], v[31:32]
	s_waitcnt vmcnt(3) lgkmcnt(3)
	v_mul_f64 v[57:58], v[9:10], v[35:36]
	s_waitcnt vmcnt(2) lgkmcnt(2)
	v_mul_f64 v[59:60], v[13:14], v[39:40]
	v_mul_f64 v[35:36], v[11:12], v[35:36]
	v_mul_f64 v[39:40], v[15:16], v[39:40]
	;; [unrolled: 6-line block ×3, first 2 shown]
	v_fma_f64 v[1:2], v[1:2], v[25:26], -v[41:42]
	v_fma_f64 v[5:6], v[5:6], v[29:30], -v[55:56]
	v_fma_f64 v[3:4], v[25:26], v[3:4], v[27:28]
	v_fma_f64 v[7:8], v[29:30], v[7:8], v[31:32]
	v_fma_f64 v[11:12], v[33:34], v[11:12], v[57:58]
	v_fma_f64 v[15:16], v[37:38], v[15:16], v[59:60]
	v_fma_f64 v[9:10], v[9:10], v[33:34], -v[35:36]
	v_fma_f64 v[13:14], v[13:14], v[37:38], -v[39:40]
	v_fma_f64 v[17:18], v[17:18], v[47:48], -v[61:62]
	v_fma_f64 v[21:22], v[21:22], v[51:52], -v[63:64]
	v_fma_f64 v[23:24], v[51:52], v[23:24], v[53:54]
	v_fma_f64 v[19:20], v[47:48], v[19:20], v[49:50]
	v_add_f64 v[29:30], v[1:2], v[5:6]
	v_add_f64 v[5:6], v[1:2], -v[5:6]
	v_add_f64 v[25:26], v[3:4], v[7:8]
	v_add_f64 v[7:8], v[3:4], -v[7:8]
	;; [unrolled: 2-line block ×4, first 2 shown]
	v_add_f64 v[33:34], v[17:18], -v[21:22]
	v_add_f64 v[17:18], v[17:18], v[21:22]
	v_add_f64 v[35:36], v[19:20], v[23:24]
	v_add_f64 v[19:20], v[19:20], -v[23:24]
	ds_read_b128 v[0:3], v0
	v_add_f64 v[13:14], v[25:26], v[27:28]
	v_add_f64 v[47:48], v[7:8], -v[11:12]
	v_add_f64 v[21:22], v[29:30], v[31:32]
	v_add_f64 v[41:42], v[5:6], -v[9:10]
	v_add_f64 v[15:16], v[33:34], -v[5:6]
	;; [unrolled: 1-line block ×5, first 2 shown]
	v_add_f64 v[4:5], v[33:34], v[5:6]
	v_add_f64 v[33:34], v[9:10], -v[33:34]
	v_add_f64 v[6:7], v[19:20], v[7:8]
	v_add_f64 v[19:20], v[11:12], -v[19:20]
	;; [unrolled: 2-line block ×4, first 2 shown]
	v_mul_f64 v[15:16], v[15:16], s[0:1]
	v_mul_f64 v[37:38], v[37:38], s[6:7]
	;; [unrolled: 1-line block ×4, first 2 shown]
	s_mov_b32 s0, 0x429ad128
	s_mov_b32 s1, 0x3febfeb5
	s_mov_b32 s6, 0x36b3c0b5
	v_add_f64 v[25:26], v[25:26], -v[27:28]
	v_add_f64 v[27:28], v[29:30], -v[31:32]
	s_mov_b32 s7, 0x3fac98ee
	v_mul_f64 v[29:30], v[41:42], s[0:1]
	v_mul_f64 v[49:50], v[47:48], s[0:1]
	v_add_f64 v[4:5], v[4:5], v[9:10]
	v_add_f64 v[6:7], v[6:7], v[11:12]
	s_waitcnt lgkmcnt(0)
	v_add_f64 v[2:3], v[2:3], v[13:14]
	v_mul_f64 v[31:32], v[35:36], s[6:7]
	v_add_f64 v[0:1], v[0:1], v[21:22]
	v_mul_f64 v[51:52], v[17:18], s[6:7]
	v_fma_f64 v[8:9], v[33:34], s[4:5], v[15:16]
	v_fma_f64 v[17:18], v[17:18], s[6:7], v[37:38]
	;; [unrolled: 1-line block ×4, first 2 shown]
	s_mov_b32 s5, 0xbfd5d0dc
	v_fma_f64 v[15:16], v[41:42], s[0:1], -v[15:16]
	v_fma_f64 v[23:24], v[25:26], s[10:11], -v[23:24]
	;; [unrolled: 1-line block ×3, first 2 shown]
	s_mov_b32 s11, 0x3fe77f67
	v_fma_f64 v[29:30], v[33:34], s[4:5], -v[29:30]
	v_fma_f64 v[19:20], v[19:20], s[4:5], -v[49:50]
	v_lshlrev_b64 v[33:34], 4, v[44:45]
	v_fma_f64 v[12:13], v[13:14], s[8:9], v[2:3]
	v_fma_f64 v[25:26], v[25:26], s[10:11], -v[31:32]
	v_fma_f64 v[21:22], v[21:22], s[8:9], v[0:1]
	v_fma_f64 v[31:32], v[47:48], s[0:1], -v[39:40]
	v_fma_f64 v[27:28], v[27:28], s[10:11], -v[51:52]
	v_mov_b32_e32 v47, 0
	s_mov_b32 s0, 0x37c3f68c
	s_mov_b32 s1, 0x3fdc38aa
	v_fma_f64 v[8:9], v[4:5], s[0:1], v[8:9]
	v_fma_f64 v[35:36], v[6:7], s[0:1], v[35:36]
	;; [unrolled: 1-line block ×3, first 2 shown]
	v_lshlrev_b64 v[39:40], 4, v[46:47]
	v_fma_f64 v[29:30], v[4:5], s[0:1], v[29:30]
	v_fma_f64 v[45:46], v[6:7], s[0:1], v[19:20]
	v_add_co_u32 v4, vcc_lo, s2, v33
	v_add_co_ci_u32_e32 v5, vcc_lo, s3, v34, vcc_lo
	v_add_co_u32 v33, vcc_lo, v4, v39
	v_add_f64 v[43:44], v[10:11], v[12:13]
	v_add_f64 v[16:17], v[17:18], v[21:22]
	;; [unrolled: 1-line block ×5, first 2 shown]
	v_fma_f64 v[31:32], v[6:7], s[0:1], v[31:32]
	v_add_f64 v[47:48], v[27:28], v[21:22]
	v_add_co_ci_u32_e32 v34, vcc_lo, v5, v40, vcc_lo
	v_add_co_u32 v39, vcc_lo, 0x800, v33
	v_add_co_ci_u32_e32 v40, vcc_lo, 0, v34, vcc_lo
	v_add_co_u32 v28, vcc_lo, 0x1000, v33
	v_add_f64 v[26:27], v[43:44], -v[8:9]
	v_add_f64 v[4:5], v[16:17], -v[35:36]
	v_add_f64 v[10:11], v[29:30], v[23:24]
	v_add_f64 v[22:23], v[23:24], -v[29:30]
	v_add_f64 v[24:25], v[35:36], v[16:17]
	v_add_f64 v[20:21], v[45:46], v[37:38]
	;; [unrolled: 1-line block ×3, first 2 shown]
	v_add_f64 v[16:17], v[47:48], -v[31:32]
	v_add_f64 v[14:15], v[12:13], -v[41:42]
	v_add_f64 v[12:13], v[31:32], v[47:48]
	v_add_f64 v[6:7], v[8:9], v[43:44]
	v_add_f64 v[8:9], v[37:38], -v[45:46]
	v_add_co_ci_u32_e32 v29, vcc_lo, 0, v34, vcc_lo
	v_add_co_u32 v30, vcc_lo, 0x1800, v33
	v_add_co_ci_u32_e32 v31, vcc_lo, 0, v34, vcc_lo
	v_add_co_u32 v35, vcc_lo, 0x2000, v33
	;; [unrolled: 2-line block ×3, first 2 shown]
	v_add_co_ci_u32_e32 v38, vcc_lo, 0, v34, vcc_lo
	global_store_dwordx4 v[33:34], v[0:3], off
	global_store_dwordx4 v[33:34], v[24:27], off offset:1760
	global_store_dwordx4 v[39:40], v[20:23], off offset:1472
	;; [unrolled: 1-line block ×6, first 2 shown]
.LBB0_21:
	s_endpgm
	.section	.rodata,"a",@progbits
	.p2align	6, 0x0
	.amdhsa_kernel fft_rtc_fwd_len770_factors_11_10_7_wgs_220_tpt_110_dp_ip_CI_unitstride_sbrr_dirReg
		.amdhsa_group_segment_fixed_size 0
		.amdhsa_private_segment_fixed_size 0
		.amdhsa_kernarg_size 88
		.amdhsa_user_sgpr_count 6
		.amdhsa_user_sgpr_private_segment_buffer 1
		.amdhsa_user_sgpr_dispatch_ptr 0
		.amdhsa_user_sgpr_queue_ptr 0
		.amdhsa_user_sgpr_kernarg_segment_ptr 1
		.amdhsa_user_sgpr_dispatch_id 0
		.amdhsa_user_sgpr_flat_scratch_init 0
		.amdhsa_user_sgpr_private_segment_size 0
		.amdhsa_wavefront_size32 1
		.amdhsa_uses_dynamic_stack 0
		.amdhsa_system_sgpr_private_segment_wavefront_offset 0
		.amdhsa_system_sgpr_workgroup_id_x 1
		.amdhsa_system_sgpr_workgroup_id_y 0
		.amdhsa_system_sgpr_workgroup_id_z 0
		.amdhsa_system_sgpr_workgroup_info 0
		.amdhsa_system_vgpr_workitem_id 0
		.amdhsa_next_free_vgpr 141
		.amdhsa_next_free_sgpr 36
		.amdhsa_reserve_vcc 1
		.amdhsa_reserve_flat_scratch 0
		.amdhsa_float_round_mode_32 0
		.amdhsa_float_round_mode_16_64 0
		.amdhsa_float_denorm_mode_32 3
		.amdhsa_float_denorm_mode_16_64 3
		.amdhsa_dx10_clamp 1
		.amdhsa_ieee_mode 1
		.amdhsa_fp16_overflow 0
		.amdhsa_workgroup_processor_mode 1
		.amdhsa_memory_ordered 1
		.amdhsa_forward_progress 0
		.amdhsa_shared_vgpr_count 0
		.amdhsa_exception_fp_ieee_invalid_op 0
		.amdhsa_exception_fp_denorm_src 0
		.amdhsa_exception_fp_ieee_div_zero 0
		.amdhsa_exception_fp_ieee_overflow 0
		.amdhsa_exception_fp_ieee_underflow 0
		.amdhsa_exception_fp_ieee_inexact 0
		.amdhsa_exception_int_div_zero 0
	.end_amdhsa_kernel
	.text
.Lfunc_end0:
	.size	fft_rtc_fwd_len770_factors_11_10_7_wgs_220_tpt_110_dp_ip_CI_unitstride_sbrr_dirReg, .Lfunc_end0-fft_rtc_fwd_len770_factors_11_10_7_wgs_220_tpt_110_dp_ip_CI_unitstride_sbrr_dirReg
                                        ; -- End function
	.section	.AMDGPU.csdata,"",@progbits
; Kernel info:
; codeLenInByte = 7592
; NumSgprs: 38
; NumVgprs: 141
; ScratchSize: 0
; MemoryBound: 1
; FloatMode: 240
; IeeeMode: 1
; LDSByteSize: 0 bytes/workgroup (compile time only)
; SGPRBlocks: 4
; VGPRBlocks: 17
; NumSGPRsForWavesPerEU: 38
; NumVGPRsForWavesPerEU: 141
; Occupancy: 7
; WaveLimiterHint : 1
; COMPUTE_PGM_RSRC2:SCRATCH_EN: 0
; COMPUTE_PGM_RSRC2:USER_SGPR: 6
; COMPUTE_PGM_RSRC2:TRAP_HANDLER: 0
; COMPUTE_PGM_RSRC2:TGID_X_EN: 1
; COMPUTE_PGM_RSRC2:TGID_Y_EN: 0
; COMPUTE_PGM_RSRC2:TGID_Z_EN: 0
; COMPUTE_PGM_RSRC2:TIDIG_COMP_CNT: 0
	.text
	.p2alignl 6, 3214868480
	.fill 48, 4, 3214868480
	.type	__hip_cuid_194746704e144107,@object ; @__hip_cuid_194746704e144107
	.section	.bss,"aw",@nobits
	.globl	__hip_cuid_194746704e144107
__hip_cuid_194746704e144107:
	.byte	0                               ; 0x0
	.size	__hip_cuid_194746704e144107, 1

	.ident	"AMD clang version 19.0.0git (https://github.com/RadeonOpenCompute/llvm-project roc-6.4.0 25133 c7fe45cf4b819c5991fe208aaa96edf142730f1d)"
	.section	".note.GNU-stack","",@progbits
	.addrsig
	.addrsig_sym __hip_cuid_194746704e144107
	.amdgpu_metadata
---
amdhsa.kernels:
  - .args:
      - .actual_access:  read_only
        .address_space:  global
        .offset:         0
        .size:           8
        .value_kind:     global_buffer
      - .offset:         8
        .size:           8
        .value_kind:     by_value
      - .actual_access:  read_only
        .address_space:  global
        .offset:         16
        .size:           8
        .value_kind:     global_buffer
      - .actual_access:  read_only
        .address_space:  global
        .offset:         24
        .size:           8
        .value_kind:     global_buffer
      - .offset:         32
        .size:           8
        .value_kind:     by_value
      - .actual_access:  read_only
        .address_space:  global
        .offset:         40
        .size:           8
        .value_kind:     global_buffer
      - .actual_access:  read_only
        .address_space:  global
        .offset:         48
        .size:           8
        .value_kind:     global_buffer
      - .offset:         56
        .size:           4
        .value_kind:     by_value
      - .actual_access:  read_only
        .address_space:  global
        .offset:         64
        .size:           8
        .value_kind:     global_buffer
      - .actual_access:  read_only
        .address_space:  global
        .offset:         72
        .size:           8
        .value_kind:     global_buffer
      - .address_space:  global
        .offset:         80
        .size:           8
        .value_kind:     global_buffer
    .group_segment_fixed_size: 0
    .kernarg_segment_align: 8
    .kernarg_segment_size: 88
    .language:       OpenCL C
    .language_version:
      - 2
      - 0
    .max_flat_workgroup_size: 220
    .name:           fft_rtc_fwd_len770_factors_11_10_7_wgs_220_tpt_110_dp_ip_CI_unitstride_sbrr_dirReg
    .private_segment_fixed_size: 0
    .sgpr_count:     38
    .sgpr_spill_count: 0
    .symbol:         fft_rtc_fwd_len770_factors_11_10_7_wgs_220_tpt_110_dp_ip_CI_unitstride_sbrr_dirReg.kd
    .uniform_work_group_size: 1
    .uses_dynamic_stack: false
    .vgpr_count:     141
    .vgpr_spill_count: 0
    .wavefront_size: 32
    .workgroup_processor_mode: 1
amdhsa.target:   amdgcn-amd-amdhsa--gfx1030
amdhsa.version:
  - 1
  - 2
...

	.end_amdgpu_metadata
